;; amdgpu-corpus repo=ROCm/rocFFT kind=compiled arch=gfx906 opt=O3
	.text
	.amdgcn_target "amdgcn-amd-amdhsa--gfx906"
	.amdhsa_code_object_version 6
	.protected	fft_rtc_fwd_len416_factors_13_2_16_wgs_64_tpt_32_half_op_CI_CI_unitstride_sbrr_dirReg ; -- Begin function fft_rtc_fwd_len416_factors_13_2_16_wgs_64_tpt_32_half_op_CI_CI_unitstride_sbrr_dirReg
	.globl	fft_rtc_fwd_len416_factors_13_2_16_wgs_64_tpt_32_half_op_CI_CI_unitstride_sbrr_dirReg
	.p2align	8
	.type	fft_rtc_fwd_len416_factors_13_2_16_wgs_64_tpt_32_half_op_CI_CI_unitstride_sbrr_dirReg,@function
fft_rtc_fwd_len416_factors_13_2_16_wgs_64_tpt_32_half_op_CI_CI_unitstride_sbrr_dirReg: ; @fft_rtc_fwd_len416_factors_13_2_16_wgs_64_tpt_32_half_op_CI_CI_unitstride_sbrr_dirReg
; %bb.0:
	s_load_dwordx4 s[8:11], s[4:5], 0x58
	s_load_dwordx4 s[12:15], s[4:5], 0x0
	;; [unrolled: 1-line block ×3, first 2 shown]
	v_lshrrev_b32_e32 v1, 5, v0
	v_mov_b32_e32 v3, 0
	v_mov_b32_e32 v6, 0
	s_waitcnt lgkmcnt(0)
	v_cmp_lt_u64_e64 s[0:1], s[14:15], 2
	v_lshl_or_b32 v8, s6, 1, v1
	v_mov_b32_e32 v9, v3
	s_and_b64 vcc, exec, s[0:1]
	v_mov_b32_e32 v7, 0
	s_cbranch_vccnz .LBB0_8
; %bb.1:
	s_load_dwordx2 s[0:1], s[4:5], 0x10
	s_add_u32 s2, s18, 8
	s_addc_u32 s3, s19, 0
	s_add_u32 s6, s16, 8
	s_addc_u32 s7, s17, 0
	v_mov_b32_e32 v6, 0
	s_waitcnt lgkmcnt(0)
	s_add_u32 s20, s0, 8
	v_mov_b32_e32 v7, 0
	v_mov_b32_e32 v1, v6
	s_addc_u32 s21, s1, 0
	s_mov_b64 s[22:23], 1
	v_mov_b32_e32 v2, v7
.LBB0_2:                                ; =>This Inner Loop Header: Depth=1
	s_load_dwordx2 s[24:25], s[20:21], 0x0
	s_waitcnt lgkmcnt(0)
	v_or_b32_e32 v4, s25, v9
	v_cmp_ne_u64_e32 vcc, 0, v[3:4]
                                        ; implicit-def: $vgpr4_vgpr5
	s_and_saveexec_b64 s[0:1], vcc
	s_xor_b64 s[26:27], exec, s[0:1]
	s_cbranch_execz .LBB0_4
; %bb.3:                                ;   in Loop: Header=BB0_2 Depth=1
	v_cvt_f32_u32_e32 v4, s24
	v_cvt_f32_u32_e32 v5, s25
	s_sub_u32 s0, 0, s24
	s_subb_u32 s1, 0, s25
	v_mac_f32_e32 v4, 0x4f800000, v5
	v_rcp_f32_e32 v4, v4
	v_mul_f32_e32 v4, 0x5f7ffffc, v4
	v_mul_f32_e32 v5, 0x2f800000, v4
	v_trunc_f32_e32 v5, v5
	v_mac_f32_e32 v4, 0xcf800000, v5
	v_cvt_u32_f32_e32 v5, v5
	v_cvt_u32_f32_e32 v4, v4
	v_mul_lo_u32 v10, s0, v5
	v_mul_hi_u32 v11, s0, v4
	v_mul_lo_u32 v13, s1, v4
	v_mul_lo_u32 v12, s0, v4
	v_add_u32_e32 v10, v11, v10
	v_add_u32_e32 v10, v10, v13
	v_mul_hi_u32 v11, v4, v12
	v_mul_lo_u32 v13, v4, v10
	v_mul_hi_u32 v15, v4, v10
	v_mul_hi_u32 v14, v5, v12
	v_mul_lo_u32 v12, v5, v12
	v_mul_hi_u32 v16, v5, v10
	v_add_co_u32_e32 v11, vcc, v11, v13
	v_addc_co_u32_e32 v13, vcc, 0, v15, vcc
	v_mul_lo_u32 v10, v5, v10
	v_add_co_u32_e32 v11, vcc, v11, v12
	v_addc_co_u32_e32 v11, vcc, v13, v14, vcc
	v_addc_co_u32_e32 v12, vcc, 0, v16, vcc
	v_add_co_u32_e32 v10, vcc, v11, v10
	v_addc_co_u32_e32 v11, vcc, 0, v12, vcc
	v_add_co_u32_e32 v4, vcc, v4, v10
	v_addc_co_u32_e32 v5, vcc, v5, v11, vcc
	v_mul_lo_u32 v10, s0, v5
	v_mul_hi_u32 v11, s0, v4
	v_mul_lo_u32 v12, s1, v4
	v_mul_lo_u32 v13, s0, v4
	v_add_u32_e32 v10, v11, v10
	v_add_u32_e32 v10, v10, v12
	v_mul_lo_u32 v14, v4, v10
	v_mul_hi_u32 v15, v4, v13
	v_mul_hi_u32 v16, v4, v10
	v_mul_hi_u32 v12, v5, v13
	v_mul_lo_u32 v13, v5, v13
	v_mul_hi_u32 v11, v5, v10
	v_add_co_u32_e32 v14, vcc, v15, v14
	v_addc_co_u32_e32 v15, vcc, 0, v16, vcc
	v_mul_lo_u32 v10, v5, v10
	v_add_co_u32_e32 v13, vcc, v14, v13
	v_addc_co_u32_e32 v12, vcc, v15, v12, vcc
	v_addc_co_u32_e32 v11, vcc, 0, v11, vcc
	v_add_co_u32_e32 v10, vcc, v12, v10
	v_addc_co_u32_e32 v11, vcc, 0, v11, vcc
	v_add_co_u32_e32 v10, vcc, v4, v10
	v_addc_co_u32_e32 v11, vcc, v5, v11, vcc
	v_mad_u64_u32 v[4:5], s[0:1], v8, v11, 0
	v_mul_hi_u32 v12, v8, v10
	v_add_co_u32_e32 v12, vcc, v12, v4
	v_addc_co_u32_e32 v13, vcc, 0, v5, vcc
	v_mad_u64_u32 v[4:5], s[0:1], v9, v10, 0
	v_mad_u64_u32 v[10:11], s[0:1], v9, v11, 0
	v_add_co_u32_e32 v4, vcc, v12, v4
	v_addc_co_u32_e32 v4, vcc, v13, v5, vcc
	v_addc_co_u32_e32 v5, vcc, 0, v11, vcc
	v_add_co_u32_e32 v10, vcc, v4, v10
	v_addc_co_u32_e32 v11, vcc, 0, v5, vcc
	v_mul_lo_u32 v12, s25, v10
	v_mul_lo_u32 v13, s24, v11
	v_mad_u64_u32 v[4:5], s[0:1], s24, v10, 0
	v_add3_u32 v5, v5, v13, v12
	v_sub_u32_e32 v12, v9, v5
	v_mov_b32_e32 v13, s25
	v_sub_co_u32_e32 v4, vcc, v8, v4
	v_subb_co_u32_e64 v12, s[0:1], v12, v13, vcc
	v_subrev_co_u32_e64 v13, s[0:1], s24, v4
	v_subbrev_co_u32_e64 v12, s[0:1], 0, v12, s[0:1]
	v_cmp_le_u32_e64 s[0:1], s25, v12
	v_cndmask_b32_e64 v14, 0, -1, s[0:1]
	v_cmp_le_u32_e64 s[0:1], s24, v13
	v_cndmask_b32_e64 v13, 0, -1, s[0:1]
	v_cmp_eq_u32_e64 s[0:1], s25, v12
	v_cndmask_b32_e64 v12, v14, v13, s[0:1]
	v_add_co_u32_e64 v13, s[0:1], 2, v10
	v_addc_co_u32_e64 v14, s[0:1], 0, v11, s[0:1]
	v_add_co_u32_e64 v15, s[0:1], 1, v10
	v_addc_co_u32_e64 v16, s[0:1], 0, v11, s[0:1]
	v_subb_co_u32_e32 v5, vcc, v9, v5, vcc
	v_cmp_ne_u32_e64 s[0:1], 0, v12
	v_cmp_le_u32_e32 vcc, s25, v5
	v_cndmask_b32_e64 v12, v16, v14, s[0:1]
	v_cndmask_b32_e64 v14, 0, -1, vcc
	v_cmp_le_u32_e32 vcc, s24, v4
	v_cndmask_b32_e64 v4, 0, -1, vcc
	v_cmp_eq_u32_e32 vcc, s25, v5
	v_cndmask_b32_e32 v4, v14, v4, vcc
	v_cmp_ne_u32_e32 vcc, 0, v4
	v_cndmask_b32_e64 v4, v15, v13, s[0:1]
	v_cndmask_b32_e32 v5, v11, v12, vcc
	v_cndmask_b32_e32 v4, v10, v4, vcc
.LBB0_4:                                ;   in Loop: Header=BB0_2 Depth=1
	s_andn2_saveexec_b64 s[0:1], s[26:27]
	s_cbranch_execz .LBB0_6
; %bb.5:                                ;   in Loop: Header=BB0_2 Depth=1
	v_cvt_f32_u32_e32 v4, s24
	s_sub_i32 s26, 0, s24
	v_rcp_iflag_f32_e32 v4, v4
	v_mul_f32_e32 v4, 0x4f7ffffe, v4
	v_cvt_u32_f32_e32 v4, v4
	v_mul_lo_u32 v5, s26, v4
	v_mul_hi_u32 v5, v4, v5
	v_add_u32_e32 v4, v4, v5
	v_mul_hi_u32 v4, v8, v4
	v_mul_lo_u32 v5, v4, s24
	v_add_u32_e32 v10, 1, v4
	v_sub_u32_e32 v5, v8, v5
	v_subrev_u32_e32 v11, s24, v5
	v_cmp_le_u32_e32 vcc, s24, v5
	v_cndmask_b32_e32 v5, v5, v11, vcc
	v_cndmask_b32_e32 v4, v4, v10, vcc
	v_add_u32_e32 v10, 1, v4
	v_cmp_le_u32_e32 vcc, s24, v5
	v_cndmask_b32_e32 v4, v4, v10, vcc
	v_mov_b32_e32 v5, v3
.LBB0_6:                                ;   in Loop: Header=BB0_2 Depth=1
	s_or_b64 exec, exec, s[0:1]
	v_mul_lo_u32 v12, v5, s24
	v_mul_lo_u32 v13, v4, s25
	v_mad_u64_u32 v[10:11], s[0:1], v4, s24, 0
	s_load_dwordx2 s[0:1], s[6:7], 0x0
	s_load_dwordx2 s[24:25], s[2:3], 0x0
	v_add3_u32 v11, v11, v13, v12
	v_sub_co_u32_e32 v8, vcc, v8, v10
	v_subb_co_u32_e32 v9, vcc, v9, v11, vcc
	s_waitcnt lgkmcnt(0)
	v_mul_lo_u32 v10, s0, v9
	v_mul_lo_u32 v11, s1, v8
	v_mad_u64_u32 v[6:7], s[0:1], s0, v8, v[6:7]
	v_mul_lo_u32 v9, s24, v9
	v_mul_lo_u32 v12, s25, v8
	v_mad_u64_u32 v[1:2], s[0:1], s24, v8, v[1:2]
	s_add_u32 s22, s22, 1
	s_addc_u32 s23, s23, 0
	s_add_u32 s2, s2, 8
	v_add3_u32 v2, v12, v2, v9
	s_addc_u32 s3, s3, 0
	v_mov_b32_e32 v8, s14
	s_add_u32 s6, s6, 8
	v_mov_b32_e32 v9, s15
	s_addc_u32 s7, s7, 0
	v_cmp_ge_u64_e32 vcc, s[22:23], v[8:9]
	s_add_u32 s20, s20, 8
	v_add3_u32 v7, v11, v7, v10
	s_addc_u32 s21, s21, 0
	s_cbranch_vccnz .LBB0_9
; %bb.7:                                ;   in Loop: Header=BB0_2 Depth=1
	v_mov_b32_e32 v9, v5
	v_mov_b32_e32 v8, v4
	s_branch .LBB0_2
.LBB0_8:
	v_mov_b32_e32 v1, v6
	v_mov_b32_e32 v4, v8
	;; [unrolled: 1-line block ×4, first 2 shown]
.LBB0_9:
	s_load_dwordx2 s[0:1], s[4:5], 0x28
	s_lshl_b64 s[6:7], s[14:15], 3
	s_add_u32 s2, s18, s6
	s_addc_u32 s3, s19, s7
	v_and_b32_e32 v3, 31, v0
	s_waitcnt lgkmcnt(0)
	v_cmp_gt_u64_e32 vcc, s[0:1], v[4:5]
	v_cmp_le_u64_e64 s[0:1], s[0:1], v[4:5]
                                        ; implicit-def: $sgpr14
                                        ; implicit-def: $vgpr12
                                        ; implicit-def: $vgpr17
                                        ; implicit-def: $vgpr16
                                        ; implicit-def: $vgpr15
                                        ; implicit-def: $vgpr14
                                        ; implicit-def: $vgpr13
	s_and_saveexec_b64 s[4:5], s[0:1]
	s_xor_b64 s[0:1], exec, s[4:5]
; %bb.10:
	v_and_b32_e32 v3, 31, v0
	v_or_b32_e32 v12, 32, v3
	v_or_b32_e32 v17, 64, v3
	;; [unrolled: 1-line block ×6, first 2 shown]
	s_mov_b32 s14, 0
                                        ; implicit-def: $vgpr6_vgpr7
; %bb.11:
	s_or_saveexec_b64 s[4:5], s[0:1]
	v_mov_b32_e32 v31, s14
                                        ; implicit-def: $vgpr36
                                        ; implicit-def: $vgpr35
                                        ; implicit-def: $vgpr32
                                        ; implicit-def: $vgpr29
                                        ; implicit-def: $vgpr28
                                        ; implicit-def: $vgpr25
                                        ; implicit-def: $vgpr24
                                        ; implicit-def: $vgpr22
                                        ; implicit-def: $vgpr20
                                        ; implicit-def: $vgpr18
                                        ; implicit-def: $vgpr10
                                        ; implicit-def: $vgpr8
                                        ; implicit-def: $vgpr11
                                        ; implicit-def: $vgpr9
                                        ; implicit-def: $vgpr21
                                        ; implicit-def: $vgpr19
                                        ; implicit-def: $vgpr26
                                        ; implicit-def: $vgpr23
                                        ; implicit-def: $vgpr30
                                        ; implicit-def: $vgpr27
                                        ; implicit-def: $vgpr34
                                        ; implicit-def: $vgpr33
                                        ; implicit-def: $vgpr38
                                        ; implicit-def: $vgpr37
	s_xor_b64 exec, exec, s[4:5]
	s_cbranch_execz .LBB0_13
; %bb.12:
	s_add_u32 s0, s16, s6
	s_addc_u32 s1, s17, s7
	s_load_dwordx2 s[0:1], s[0:1], 0x0
	v_mov_b32_e32 v12, s9
	v_lshlrev_b64 v[6:7], 2, v[6:7]
	v_or_b32_e32 v17, 64, v3
	v_or_b32_e32 v16, 0x60, v3
	s_waitcnt lgkmcnt(0)
	v_mul_lo_u32 v10, s1, v4
	v_mul_lo_u32 v11, s0, v5
	v_mad_u64_u32 v[8:9], s[0:1], s0, v4, 0
	v_or_b32_e32 v15, 0x80, v3
	v_or_b32_e32 v14, 0xa0, v3
	v_add3_u32 v9, v9, v11, v10
	v_lshlrev_b64 v[8:9], 2, v[8:9]
	v_or_b32_e32 v13, 0xc0, v3
	v_add_co_u32_e64 v8, s[0:1], s8, v8
	v_addc_co_u32_e64 v9, s[0:1], v12, v9, s[0:1]
	v_add_co_u32_e64 v6, s[0:1], v8, v6
	v_addc_co_u32_e64 v7, s[0:1], v9, v7, s[0:1]
	v_lshlrev_b32_e32 v8, 2, v3
	v_add_co_u32_e64 v6, s[0:1], v6, v8
	v_addc_co_u32_e64 v7, s[0:1], 0, v7, s[0:1]
	global_load_dword v35, v[6:7], off offset:128
	global_load_dword v29, v[6:7], off offset:256
	;; [unrolled: 1-line block ×12, first 2 shown]
	global_load_dword v31, v[6:7], off
	v_or_b32_e32 v12, 32, v3
	s_waitcnt vmcnt(12)
	v_lshrrev_b32_e32 v36, 16, v35
	s_waitcnt vmcnt(11)
	v_lshrrev_b32_e32 v32, 16, v29
	;; [unrolled: 2-line block ×12, first 2 shown]
.LBB0_13:
	s_or_b64 exec, exec, s[4:5]
	s_waitcnt vmcnt(0)
	v_add_f16_e32 v6, v35, v31
	v_add_f16_sdwa v7, v36, v31 dst_sel:DWORD dst_unused:UNUSED_PAD src0_sel:DWORD src1_sel:WORD_1
	v_add_f16_e32 v6, v29, v6
	v_add_f16_e32 v7, v32, v7
	;; [unrolled: 1-line block ×21, first 2 shown]
	v_add_f16_sdwa v7, v38, v7 dst_sel:WORD_1 dst_unused:UNUSED_PAD src0_sel:DWORD src1_sel:DWORD
	v_or_b32_e32 v6, v7, v6
	v_add_f16_e32 v7, v35, v37
	v_add_f16_e32 v39, v36, v38
	v_sub_f16_e32 v35, v35, v37
	v_sub_f16_e32 v36, v36, v38
	v_mul_f16_e32 v37, 0x3b15, v7
	s_movk_i32 s5, 0x3770
	s_mov_b32 s7, 0xb770
	s_movk_i32 s1, 0x3a95
	s_mov_b32 s6, 0xba95
	v_mul_f16_e32 v40, 0x388b, v7
	s_movk_i32 s0, 0x3bf1
	s_mov_b32 s4, 0xbbf1
	v_mul_f16_e32 v42, 0x2fb7, v7
	;; [unrolled: 3-line block ×4, first 2 shown]
	v_mul_f16_e32 v7, 0xbbc4, v7
	s_movk_i32 s22, 0x33a8
	s_mov_b32 s21, 0xb3a8
	v_fma_f16 v38, v36, s5, v37
	v_fma_f16 v37, v36, s7, v37
	;; [unrolled: 1-line block ×12, first 2 shown]
	s_movk_i32 s19, 0x3b15
	v_mul_f16_e32 v36, 0xb770, v35
	s_movk_i32 s18, 0x388b
	v_mul_f16_e32 v50, 0xba95, v35
	s_movk_i32 s14, 0x2fb7
	v_mul_f16_e32 v52, 0xbbf1, v35
	s_mov_b32 s17, 0xb5ac
	v_mul_f16_e32 v54, 0xbb7b, v35
	s_mov_b32 s20, 0xb9fd
	v_mul_f16_e32 v56, 0xb94e, v35
	;; [unrolled: 2-line block ×3, first 2 shown]
	v_fma_f16 v49, v39, s19, v36
	v_fma_f16 v36, v39, s19, -v36
	v_fma_f16 v51, v39, s18, v50
	v_fma_f16 v50, v39, s18, -v50
	;; [unrolled: 2-line block ×6, first 2 shown]
	v_add_f16_e32 v38, v38, v31
	v_add_f16_sdwa v39, v49, v31 dst_sel:DWORD dst_unused:UNUSED_PAD src0_sel:DWORD src1_sel:WORD_1
	v_add_f16_e32 v37, v37, v31
	v_add_f16_sdwa v36, v36, v31 dst_sel:DWORD dst_unused:UNUSED_PAD src0_sel:DWORD src1_sel:WORD_1
	v_add_f16_e32 v41, v41, v31
	v_add_f16_sdwa v49, v51, v31 dst_sel:DWORD dst_unused:UNUSED_PAD src0_sel:DWORD src1_sel:WORD_1
	v_add_f16_e32 v40, v40, v31
	v_add_f16_sdwa v50, v50, v31 dst_sel:DWORD dst_unused:UNUSED_PAD src0_sel:DWORD src1_sel:WORD_1
	v_add_f16_e32 v43, v43, v31
	v_add_f16_sdwa v51, v53, v31 dst_sel:DWORD dst_unused:UNUSED_PAD src0_sel:DWORD src1_sel:WORD_1
	v_add_f16_e32 v42, v42, v31
	v_add_f16_sdwa v52, v52, v31 dst_sel:DWORD dst_unused:UNUSED_PAD src0_sel:DWORD src1_sel:WORD_1
	v_add_f16_e32 v45, v45, v31
	v_add_f16_sdwa v53, v55, v31 dst_sel:DWORD dst_unused:UNUSED_PAD src0_sel:DWORD src1_sel:WORD_1
	v_add_f16_e32 v44, v44, v31
	v_add_f16_sdwa v54, v54, v31 dst_sel:DWORD dst_unused:UNUSED_PAD src0_sel:DWORD src1_sel:WORD_1
	v_add_f16_e32 v47, v47, v31
	v_add_f16_sdwa v55, v57, v31 dst_sel:DWORD dst_unused:UNUSED_PAD src0_sel:DWORD src1_sel:WORD_1
	v_add_f16_e32 v46, v46, v31
	v_add_f16_sdwa v56, v56, v31 dst_sel:DWORD dst_unused:UNUSED_PAD src0_sel:DWORD src1_sel:WORD_1
	v_add_f16_e32 v48, v48, v31
	v_add_f16_sdwa v57, v58, v31 dst_sel:DWORD dst_unused:UNUSED_PAD src0_sel:DWORD src1_sel:WORD_1
	v_add_f16_e32 v7, v7, v31
	v_add_f16_sdwa v31, v35, v31 dst_sel:DWORD dst_unused:UNUSED_PAD src0_sel:DWORD src1_sel:WORD_1
	v_add_f16_e32 v35, v29, v33
	v_sub_f16_e32 v29, v29, v33
	v_add_f16_e32 v33, v32, v34
	v_sub_f16_e32 v32, v32, v34
	v_mul_f16_e32 v34, 0x388b, v35
	v_fma_f16 v58, v32, s1, v34
	v_add_f16_e32 v38, v58, v38
	v_mul_f16_e32 v58, 0xba95, v29
	v_fma_f16 v34, v32, s6, v34
	v_add_f16_e32 v34, v34, v37
	v_fma_f16 v37, v33, s18, -v58
	v_add_f16_e32 v36, v37, v36
	v_mul_f16_e32 v37, 0xb5ac, v35
	v_fma_f16 v59, v33, s18, v58
	v_fma_f16 v58, v32, s9, v37
	v_add_f16_e32 v41, v58, v41
	v_mul_f16_e32 v58, 0xbb7b, v29
	v_fma_f16 v37, v32, s8, v37
	v_add_f16_e32 v37, v37, v40
	v_fma_f16 v40, v33, s17, -v58
	v_add_f16_e32 v40, v40, v50
	v_mul_f16_e32 v50, 0xbbc4, v35
	v_add_f16_e32 v39, v59, v39
	v_fma_f16 v59, v33, s17, v58
	v_fma_f16 v58, v32, s22, v50
	v_add_f16_e32 v43, v58, v43
	v_mul_f16_e32 v58, 0xb3a8, v29
	v_fma_f16 v50, v32, s21, v50
	v_add_f16_e32 v42, v50, v42
	v_fma_f16 v50, v33, s23, -v58
	v_add_f16_e32 v50, v50, v52
	v_mul_f16_e32 v52, 0xb9fd, v35
	v_add_f16_e32 v49, v59, v49
	;; [unrolled: 10-line block ×3, first 2 shown]
	v_fma_f16 v59, v33, s20, v58
	v_fma_f16 v58, v32, s4, v54
	v_add_f16_e32 v47, v58, v47
	v_mul_f16_e32 v58, 0x3bf1, v29
	v_fma_f16 v54, v32, s0, v54
	v_add_f16_e32 v46, v54, v46
	v_fma_f16 v54, v33, s14, -v58
	v_mul_f16_e32 v35, 0x3b15, v35
	v_add_f16_e32 v54, v54, v56
	v_fma_f16 v56, v32, s7, v35
	v_mul_f16_e32 v29, 0x3770, v29
	v_add_f16_e32 v48, v56, v48
	v_fma_f16 v56, v33, s19, v29
	v_fma_f16 v29, v33, s19, -v29
	v_add_f16_e32 v29, v29, v31
	v_add_f16_e32 v31, v25, v27
	v_fma_f16 v32, v32, s5, v35
	v_sub_f16_e32 v25, v25, v27
	v_add_f16_e32 v27, v28, v30
	v_sub_f16_e32 v28, v28, v30
	v_mul_f16_e32 v30, 0x2fb7, v31
	v_add_f16_e32 v53, v59, v53
	v_fma_f16 v59, v33, s14, v58
	v_add_f16_e32 v7, v32, v7
	v_fma_f16 v32, v28, s0, v30
	v_mul_f16_e32 v33, 0xbbf1, v25
	v_fma_f16 v30, v28, s4, v30
	v_fma_f16 v35, v27, s14, v33
	v_add_f16_e32 v30, v30, v34
	v_fma_f16 v33, v27, s14, -v33
	v_mul_f16_e32 v34, 0xbbc4, v31
	v_add_f16_e32 v32, v32, v38
	v_add_f16_e32 v33, v33, v36
	v_fma_f16 v36, v28, s22, v34
	v_mul_f16_e32 v38, 0xb3a8, v25
	v_fma_f16 v34, v28, s21, v34
	v_add_f16_e32 v35, v35, v39
	v_fma_f16 v39, v27, s23, v38
	v_add_f16_e32 v34, v34, v37
	v_fma_f16 v37, v27, s23, -v38
	v_mul_f16_e32 v38, 0xb5ac, v31
	v_add_f16_e32 v37, v37, v40
	v_fma_f16 v40, v28, s8, v38
	v_fma_f16 v38, v28, s9, v38
	v_add_f16_e32 v38, v38, v42
	v_mul_f16_e32 v42, 0x3b15, v31
	v_add_f16_e32 v36, v36, v41
	v_add_f16_e32 v39, v39, v49
	v_mul_f16_e32 v41, 0x3b7b, v25
	v_fma_f16 v49, v28, s7, v42
	v_add_f16_e32 v40, v40, v43
	v_fma_f16 v43, v27, s17, v41
	v_fma_f16 v41, v27, s17, -v41
	v_add_f16_e32 v45, v49, v45
	v_mul_f16_e32 v49, 0x3770, v25
	v_fma_f16 v42, v28, s5, v42
	v_add_f16_e32 v41, v41, v50
	v_fma_f16 v50, v27, s19, v49
	v_add_f16_e32 v42, v42, v44
	v_fma_f16 v44, v27, s19, -v49
	v_mul_f16_e32 v49, 0x388b, v31
	v_add_f16_e32 v43, v43, v51
	v_fma_f16 v51, v28, s1, v49
	v_add_f16_e32 v47, v51, v47
	v_mul_f16_e32 v51, 0xba95, v25
	v_fma_f16 v49, v28, s6, v49
	v_mul_f16_e32 v31, 0xb9fd, v31
	v_add_f16_e32 v44, v44, v52
	v_fma_f16 v52, v27, s18, v51
	v_add_f16_e32 v46, v49, v46
	v_fma_f16 v49, v27, s18, -v51
	v_fma_f16 v51, v28, s16, v31
	v_mul_f16_e32 v25, 0xb94e, v25
	v_add_f16_e32 v48, v51, v48
	v_fma_f16 v51, v27, s20, v25
	v_fma_f16 v25, v27, s20, -v25
	v_add_f16_e32 v27, v22, v23
	v_fma_f16 v28, v28, s15, v31
	v_sub_f16_e32 v22, v22, v23
	v_add_f16_e32 v23, v24, v26
	v_sub_f16_e32 v24, v24, v26
	v_mul_f16_e32 v26, 0xb5ac, v27
	v_add_f16_e32 v7, v28, v7
	v_add_f16_e32 v25, v25, v29
	v_fma_f16 v28, v24, s9, v26
	v_mul_f16_e32 v29, 0xbb7b, v22
	v_fma_f16 v26, v24, s8, v26
	v_fma_f16 v31, v23, s17, v29
	v_add_f16_e32 v26, v26, v30
	v_fma_f16 v29, v23, s17, -v29
	v_mul_f16_e32 v30, 0xb9fd, v27
	v_add_f16_e32 v28, v28, v32
	v_add_f16_e32 v29, v29, v33
	v_fma_f16 v32, v24, s15, v30
	v_mul_f16_e32 v33, 0x394e, v22
	v_fma_f16 v30, v24, s16, v30
	v_add_f16_e32 v31, v31, v35
	v_fma_f16 v35, v23, s20, v33
	v_add_f16_e32 v30, v30, v34
	v_fma_f16 v33, v23, s20, -v33
	v_mul_f16_e32 v34, 0x3b15, v27
	v_add_f16_e32 v32, v32, v36
	v_add_f16_e32 v33, v33, v37
	v_fma_f16 v36, v24, s7, v34
	v_mul_f16_e32 v37, 0x3770, v22
	v_fma_f16 v34, v24, s5, v34
	v_add_f16_e32 v35, v35, v39
	;; [unrolled: 10-line block ×3, first 2 shown]
	v_fma_f16 v43, v23, s14, v41
	v_add_f16_e32 v38, v38, v42
	v_fma_f16 v41, v23, s14, -v41
	v_mul_f16_e32 v42, 0xbbc4, v27
	v_add_f16_e32 v41, v41, v44
	v_fma_f16 v44, v24, s21, v42
	v_fma_f16 v42, v24, s22, v42
	v_mul_f16_e32 v27, 0x388b, v27
	v_add_f16_e32 v40, v40, v45
	v_mul_f16_e32 v45, 0x33a8, v22
	v_add_f16_e32 v42, v42, v46
	v_fma_f16 v46, v24, s6, v27
	v_mul_f16_e32 v22, 0x3a95, v22
	v_add_f16_e32 v44, v44, v47
	v_fma_f16 v47, v23, s23, v45
	v_fma_f16 v45, v23, s23, -v45
	v_add_f16_e32 v46, v46, v48
	v_fma_f16 v48, v23, s18, v22
	v_fma_f16 v22, v23, s18, -v22
	v_add_f16_e32 v23, v18, v19
	v_fma_f16 v24, v24, s1, v27
	v_sub_f16_e32 v18, v18, v19
	v_add_f16_e32 v19, v20, v21
	v_sub_f16_e32 v20, v20, v21
	v_mul_f16_e32 v21, 0xb9fd, v23
	v_add_f16_e32 v7, v24, v7
	v_add_f16_e32 v22, v22, v25
	v_fma_f16 v24, v20, s16, v21
	v_mul_f16_e32 v25, 0xb94e, v18
	v_fma_f16 v21, v20, s15, v21
	v_fma_f16 v27, v19, s20, v25
	v_add_f16_e32 v21, v21, v26
	v_fma_f16 v25, v19, s20, -v25
	v_mul_f16_e32 v26, 0x2fb7, v23
	v_add_f16_e32 v24, v24, v28
	v_add_f16_e32 v25, v25, v29
	v_fma_f16 v28, v20, s4, v26
	v_mul_f16_e32 v29, 0x3bf1, v18
	v_fma_f16 v26, v20, s0, v26
	v_add_f16_e32 v27, v27, v31
	v_fma_f16 v31, v19, s14, v29
	v_add_f16_e32 v26, v26, v30
	v_fma_f16 v29, v19, s14, -v29
	v_mul_f16_e32 v30, 0x388b, v23
	v_add_f16_e32 v28, v28, v32
	v_add_f16_e32 v29, v29, v33
	v_fma_f16 v32, v20, s1, v30
	v_mul_f16_e32 v33, 0xba95, v18
	v_fma_f16 v30, v20, s6, v30
	v_add_f16_e32 v31, v31, v35
	;; [unrolled: 10-line block ×3, first 2 shown]
	v_fma_f16 v39, v19, s23, v37
	v_add_f16_e32 v34, v34, v38
	v_fma_f16 v37, v19, s23, -v37
	v_mul_f16_e32 v38, 0x3b15, v23
	v_add_f16_e32 v36, v36, v40
	v_add_f16_e32 v37, v37, v41
	v_fma_f16 v40, v20, s7, v38
	v_mul_f16_e32 v41, 0x3770, v18
	v_fma_f16 v38, v20, s5, v38
	v_mul_f16_e32 v23, 0xb5ac, v23
	v_mul_f16_e32 v18, 0xbb7b, v18
	v_add_f16_e32 v40, v40, v44
	v_add_f16_e32 v38, v38, v42
	v_fma_f16 v42, v20, s9, v23
	v_fma_f16 v44, v19, s17, v18
	;; [unrolled: 1-line block ×3, first 2 shown]
	v_fma_f16 v18, v19, s17, -v18
	v_add_f16_e32 v50, v50, v53
	v_add_f16_e32 v7, v20, v7
	v_add_f16_e32 v20, v18, v22
	v_add_f16_e32 v22, v8, v9
	v_add_f16_e32 v43, v43, v50
	v_sub_f16_e32 v8, v8, v9
	v_add_f16_e32 v9, v10, v11
	v_sub_f16_e32 v10, v10, v11
	v_mul_f16_e32 v11, 0xbbc4, v22
	v_add_f16_e32 v39, v39, v43
	v_fma_f16 v43, v19, s19, v41
	v_fma_f16 v41, v19, s19, -v41
	v_fma_f16 v18, v10, s22, v11
	v_mul_f16_e32 v19, 0xb3a8, v8
	v_add_f16_e32 v23, v18, v24
	v_fma_f16 v18, v9, s23, v19
	v_fma_f16 v11, v10, s21, v11
	v_add_f16_e32 v24, v18, v27
	v_add_f16_e32 v18, v11, v21
	v_fma_f16 v11, v9, s23, -v19
	v_add_f16_e32 v19, v11, v25
	v_mul_f16_e32 v11, 0x3b15, v22
	v_fma_f16 v21, v10, s7, v11
	v_fma_f16 v11, v10, s5, v11
	v_mul_f16_e32 v25, 0x3770, v8
	v_add_f16_e32 v11, v11, v26
	v_mul_f16_e32 v26, 0xb9fd, v22
	v_add_f16_e32 v21, v21, v28
	v_fma_f16 v27, v9, s19, v25
	v_fma_f16 v25, v9, s19, -v25
	v_fma_f16 v28, v10, s16, v26
	v_fma_f16 v26, v10, s15, v26
	v_add_f16_e32 v25, v25, v29
	v_mul_f16_e32 v29, 0xb94e, v8
	v_add_f16_e32 v26, v26, v30
	v_mul_f16_e32 v30, 0x388b, v22
	v_add_f16_e32 v27, v27, v31
	v_add_f16_e32 v28, v28, v32
	v_fma_f16 v31, v9, s20, v29
	v_fma_f16 v29, v9, s20, -v29
	v_fma_f16 v32, v10, s6, v30
	v_fma_f16 v30, v10, s1, v30
	v_add_f16_e32 v29, v29, v33
	v_mul_f16_e32 v33, 0x3a95, v8
	v_add_f16_e32 v30, v30, v34
	v_mul_f16_e32 v34, 0xb5ac, v22
	v_add_f16_e32 v31, v31, v35
	v_add_f16_e32 v32, v32, v36
	v_fma_f16 v35, v9, s18, v33
	v_fma_f16 v33, v9, s18, -v33
	v_fma_f16 v36, v10, s9, v34
	v_fma_f16 v34, v10, s8, v34
	v_mul_f16_e32 v22, 0x2fb7, v22
	v_and_b32_e32 v0, 32, v0
	v_add_f16_e32 v33, v33, v37
	v_mul_f16_e32 v37, 0xbb7b, v8
	v_add_f16_e32 v34, v34, v38
	v_fma_f16 v38, v10, s4, v22
	v_mul_f16_e32 v8, 0x3bf1, v8
	v_fma_f16 v10, v10, s0, v22
	v_mov_b32_e32 v22, 0x1a0
	v_cmp_ne_u32_e64 s[0:1], 0, v0
	v_add_f16_e32 v55, v59, v55
	v_add_f16_e32 v56, v56, v57
	v_cndmask_b32_e64 v22, 0, v22, s[0:1]
	v_add_f16_e32 v0, v10, v7
	v_fma_f16 v7, v9, s14, -v8
	v_add_f16_e32 v52, v52, v55
	v_add_f16_e32 v51, v51, v56
	;; [unrolled: 1-line block ×3, first 2 shown]
	v_lshl_add_u32 v20, v22, 2, 0
	v_add_f16_e32 v49, v49, v54
	v_add_f16_e32 v47, v47, v52
	;; [unrolled: 1-line block ×4, first 2 shown]
	v_fma_f16 v40, v9, s14, v8
	v_mad_u32_u24 v8, v3, 52, v20
	v_add_f16_e32 v45, v45, v49
	v_add_f16_e32 v43, v43, v47
	;; [unrolled: 1-line block ×5, first 2 shown]
	v_fma_f16 v39, v9, s17, v37
	v_fma_f16 v37, v9, s17, -v37
	ds_write_b32 v8, v6
	v_pack_b32_f16 v6, v21, v27
	v_pack_b32_f16 v9, v23, v24
	v_add_f16_e32 v41, v41, v45
	v_add_f16_e32 v39, v39, v43
	;; [unrolled: 1-line block ×4, first 2 shown]
	ds_write2_b32 v8, v9, v6 offset0:1 offset1:2
	v_pack_b32_f16 v6, v32, v35
	v_pack_b32_f16 v9, v28, v31
	v_add_f16_e32 v37, v37, v41
	ds_write2_b32 v8, v9, v6 offset0:3 offset1:4
	v_pack_b32_f16 v6, v38, v40
	v_pack_b32_f16 v9, v36, v39
	ds_write2_b32 v8, v9, v6 offset0:5 offset1:6
	v_pack_b32_f16 v6, v34, v37
	v_pack_b32_f16 v0, v0, v7
	;; [unrolled: 3-line block ×3, first 2 shown]
	s_movk_i32 s0, 0xffd0
	ds_write2_b32 v8, v6, v0 offset0:9 offset1:10
	v_pack_b32_f16 v0, v18, v19
	v_pack_b32_f16 v6, v11, v25
	v_mad_i32_i24 v24, v3, s0, v8
	ds_write2_b32 v8, v6, v0 offset0:11 offset1:12
	v_lshl_add_u32 v25, v3, 2, v20
	v_lshl_add_u32 v26, v17, 2, v20
	v_add_u32_e32 v0, 0x400, v24
	v_lshl_add_u32 v27, v16, 2, v20
	v_lshl_add_u32 v28, v15, 2, v20
	s_load_dwordx2 s[4:5], s[2:3], 0x0
	s_waitcnt lgkmcnt(0)
	; wave barrier
	s_waitcnt lgkmcnt(0)
	ds_read2_b32 v[10:11], v24 offset0:208 offset1:240
	v_lshl_add_u32 v21, v12, 2, v20
	ds_read2_b32 v[6:7], v0 offset0:16 offset1:48
	ds_read2_b32 v[8:9], v0 offset0:80 offset1:112
	v_lshl_add_u32 v20, v14, 2, v20
	ds_read_b32 v0, v25
	ds_read_b32 v23, v21
	ds_read_b32 v26, v26
	ds_read_b32 v27, v27
	ds_read_b32 v28, v28
	ds_read_b32 v29, v20
	v_cmp_gt_u32_e64 s[0:1], 16, v3
	v_lshlrev_b32_e32 v22, 2, v22
                                        ; implicit-def: $vgpr21
                                        ; implicit-def: $vgpr20
	s_and_saveexec_b64 s[2:3], s[0:1]
	s_cbranch_execz .LBB0_15
; %bb.14:
	v_lshlrev_b32_e32 v18, 2, v13
	v_add3_u32 v18, 0, v18, v22
	ds_read_b32 v18, v18
	ds_read_b32 v20, v24 offset:1600
	s_waitcnt lgkmcnt(1)
	v_lshrrev_b32_e32 v19, 16, v18
	s_waitcnt lgkmcnt(0)
	v_lshrrev_b32_e32 v21, 16, v20
.LBB0_15:
	s_or_b64 exec, exec, s[2:3]
	s_movk_i32 s2, 0x4f
	v_mul_lo_u16_sdwa v30, v3, s2 dst_sel:DWORD dst_unused:UNUSED_PAD src0_sel:BYTE_0 src1_sel:DWORD
	v_lshrrev_b16_e32 v32, 10, v30
	v_mul_lo_u16_e32 v30, 13, v32
	v_sub_u16_e32 v33, v3, v30
	v_mul_lo_u16_sdwa v30, v17, s2 dst_sel:DWORD dst_unused:UNUSED_PAD src0_sel:BYTE_0 src1_sel:DWORD
	v_lshrrev_b16_e32 v34, 10, v30
	v_mul_lo_u16_e32 v30, 13, v34
	v_sub_u16_e32 v17, v17, v30
	;; [unrolled: 4-line block ×5, first 2 shown]
	v_mul_lo_u16_sdwa v30, v13, s2 dst_sel:DWORD dst_unused:UNUSED_PAD src0_sel:BYTE_0 src1_sel:DWORD
	v_lshrrev_b16_e32 v30, 10, v30
	v_mul_lo_u16_e32 v31, 13, v30
	v_mul_lo_u16_sdwa v44, v12, s2 dst_sel:DWORD dst_unused:UNUSED_PAD src0_sel:BYTE_0 src1_sel:DWORD
	v_sub_u16_e32 v13, v13, v31
	v_mov_b32_e32 v38, 2
	v_lshrrev_b16_e32 v44, 10, v44
	v_lshlrev_b32_sdwa v31, v38, v13 dst_sel:DWORD dst_unused:UNUSED_PAD src0_sel:DWORD src1_sel:BYTE_0
	v_lshlrev_b32_sdwa v16, v38, v16 dst_sel:DWORD dst_unused:UNUSED_PAD src0_sel:DWORD src1_sel:BYTE_0
	v_mul_lo_u16_e32 v45, 13, v44
	v_lshlrev_b32_sdwa v13, v38, v33 dst_sel:DWORD dst_unused:UNUSED_PAD src0_sel:DWORD src1_sel:BYTE_0
	v_lshlrev_b32_sdwa v33, v38, v15 dst_sel:DWORD dst_unused:UNUSED_PAD src0_sel:DWORD src1_sel:BYTE_0
	v_lshlrev_b32_sdwa v39, v38, v14 dst_sel:DWORD dst_unused:UNUSED_PAD src0_sel:DWORD src1_sel:BYTE_0
	global_load_dword v14, v31, s[12:13]
	global_load_dword v15, v13, s[12:13]
	;; [unrolled: 1-line block ×4, first 2 shown]
	v_lshlrev_b32_sdwa v17, v38, v17 dst_sel:DWORD dst_unused:UNUSED_PAD src0_sel:DWORD src1_sel:BYTE_0
	global_load_dword v42, v16, s[12:13]
	global_load_dword v43, v17, s[12:13]
	v_sub_u16_e32 v12, v12, v45
	v_lshlrev_b32_sdwa v12, v38, v12 dst_sel:DWORD dst_unused:UNUSED_PAD src0_sel:DWORD src1_sel:BYTE_0
	global_load_dword v38, v12, s[12:13]
	s_movk_i32 s6, 0x68
	v_mad_u32_u24 v32, v32, s6, 0
	v_mad_u32_u24 v44, v44, s6, 0
	v_mad_u32_u24 v34, v34, s6, 0
	v_mad_u32_u24 v35, v35, s6, 0
	v_add3_u32 v32, v32, v13, v22
	v_add3_u32 v44, v44, v12, v22
	;; [unrolled: 1-line block ×4, first 2 shown]
	s_mov_b32 s2, 0xffff
	s_waitcnt lgkmcnt(0)
	; wave barrier
	s_waitcnt vmcnt(6) lgkmcnt(0)
	v_mul_f16_sdwa v12, v21, v14 dst_sel:DWORD dst_unused:UNUSED_PAD src0_sel:DWORD src1_sel:WORD_1
	v_mul_f16_sdwa v13, v20, v14 dst_sel:DWORD dst_unused:UNUSED_PAD src0_sel:DWORD src1_sel:WORD_1
	s_waitcnt vmcnt(5)
	v_pk_mul_f16 v16, v15, v10 op_sel:[0,1]
	s_waitcnt vmcnt(4)
	v_pk_mul_f16 v17, v40, v8 op_sel:[0,1]
	;; [unrolled: 2-line block ×3, first 2 shown]
	v_pk_mul_f16 v45, v41, v9 op_sel:[0,1]
	v_fma_f16 v12, v20, v14, -v12
	v_fma_f16 v13, v21, v14, v13
	v_pk_fma_f16 v14, v15, v10, v16 op_sel:[0,0,1] op_sel_hi:[1,0,0]
	v_pk_fma_f16 v10, v15, v10, v16 op_sel:[0,0,1] op_sel_hi:[1,0,0] neg_lo:[0,0,1] neg_hi:[0,0,1]
	v_pk_fma_f16 v15, v40, v8, v17 op_sel:[0,0,1] op_sel_hi:[1,0,0]
	v_pk_fma_f16 v8, v40, v8, v17 op_sel:[0,0,1] op_sel_hi:[1,0,0] neg_lo:[0,0,1] neg_hi:[0,0,1]
	v_pk_fma_f16 v17, v42, v7, v46 op_sel:[0,0,1] op_sel_hi:[1,1,0] neg_lo:[0,0,1] neg_hi:[0,0,1]
	v_pk_fma_f16 v7, v42, v7, v46 op_sel:[0,0,1] op_sel_hi:[1,0,0]
	v_pk_fma_f16 v16, v41, v9, v45 op_sel:[0,0,1] op_sel_hi:[1,0,0]
	v_pk_fma_f16 v9, v41, v9, v45 op_sel:[0,0,1] op_sel_hi:[1,0,0] neg_lo:[0,0,1] neg_hi:[0,0,1]
	v_bfi_b32 v14, s2, v10, v14
	v_sub_f16_e32 v10, v18, v12
	v_bfi_b32 v12, s2, v17, v7
	v_bfi_b32 v9, s2, v9, v16
	v_pk_add_f16 v16, v27, v12 neg_lo:[0,1] neg_hi:[0,1]
	s_waitcnt vmcnt(0)
	v_pk_mul_f16 v12, v38, v11 op_sel:[0,1]
	v_pk_mul_f16 v47, v43, v6 op_sel:[0,1]
	v_bfi_b32 v8, s2, v8, v15
	v_pk_fma_f16 v15, v38, v11, v12 op_sel:[0,0,1] op_sel_hi:[1,1,0] neg_lo:[0,0,1] neg_hi:[0,0,1]
	v_pk_fma_f16 v11, v38, v11, v12 op_sel:[0,0,1] op_sel_hi:[1,0,0]
	v_pk_fma_f16 v20, v43, v6, v47 op_sel:[0,0,1] op_sel_hi:[1,1,0] neg_lo:[0,0,1] neg_hi:[0,0,1]
	v_pk_fma_f16 v6, v43, v6, v47 op_sel:[0,0,1] op_sel_hi:[1,0,0]
	v_bfi_b32 v11, s2, v15, v11
	v_sub_f16_e32 v21, v19, v13
	v_bfi_b32 v13, s2, v20, v6
	v_pk_add_f16 v14, v0, v14 neg_lo:[0,1] neg_hi:[0,1]
	v_pk_add_f16 v8, v28, v8 neg_lo:[0,1] neg_hi:[0,1]
	v_pk_add_f16 v12, v23, v11 neg_lo:[0,1] neg_hi:[0,1]
	v_mad_u32_u24 v11, v36, s6, 0
	v_fma_f16 v7, v18, 2.0, -v10
	v_pk_add_f16 v18, v26, v13 neg_lo:[0,1] neg_hi:[0,1]
	v_pk_fma_f16 v0, v0, 2.0, v14 op_sel_hi:[1,0,1] neg_lo:[0,0,1] neg_hi:[0,0,1]
	v_pk_fma_f16 v17, v28, 2.0, v8 op_sel_hi:[1,0,1] neg_lo:[0,0,1] neg_hi:[0,0,1]
	v_add3_u32 v11, v11, v33, v22
	v_pk_add_f16 v6, v29, v9 neg_lo:[0,1] neg_hi:[0,1]
	v_fma_f16 v20, v19, 2.0, -v21
	v_pk_fma_f16 v19, v27, 2.0, v16 op_sel_hi:[1,0,1] neg_lo:[0,0,1] neg_hi:[0,0,1]
	v_pk_fma_f16 v13, v26, 2.0, v18 op_sel_hi:[1,0,1] neg_lo:[0,0,1] neg_hi:[0,0,1]
	;; [unrolled: 1-line block ×3, first 2 shown]
	ds_write2_b32 v32, v0, v14 offset1:13
	ds_write2_b32 v44, v15, v12 offset1:13
	;; [unrolled: 1-line block ×5, first 2 shown]
	v_mad_u32_u24 v11, v37, s6, 0
	v_pk_fma_f16 v9, v29, 2.0, v6 op_sel_hi:[1,0,1] neg_lo:[0,0,1] neg_hi:[0,0,1]
	v_add3_u32 v11, v11, v39, v22
	ds_write2_b32 v11, v9, v6 offset1:13
	s_and_saveexec_b64 s[2:3], s[0:1]
	s_cbranch_execz .LBB0_17
; %bb.16:
	v_mad_u32_u24 v11, v30, s6, 0
	s_mov_b32 s0, 0x5040100
	v_add3_u32 v11, v11, v31, v22
	v_perm_b32 v22, v20, v7, s0
	v_perm_b32 v23, v21, v10, s0
	ds_write2_b32 v11, v22, v23 offset1:13
.LBB0_17:
	s_or_b64 exec, exec, s[2:3]
	v_cmp_gt_u32_e64 s[0:1], 26, v3
	v_lshrrev_b32_e32 v26, 16, v14
	v_lshrrev_b32_e32 v31, 16, v19
	;; [unrolled: 1-line block ×7, first 2 shown]
	s_waitcnt lgkmcnt(0)
	; wave barrier
	s_waitcnt lgkmcnt(0)
                                        ; implicit-def: $vgpr28
                                        ; implicit-def: $vgpr23
                                        ; implicit-def: $vgpr22
	s_and_saveexec_b64 s[2:3], s[0:1]
	s_cbranch_execz .LBB0_19
; %bb.18:
	ds_read2_b32 v[14:15], v24 offset0:26 offset1:52
	ds_read2_b32 v[12:13], v24 offset0:78 offset1:104
	;; [unrolled: 1-line block ×4, first 2 shown]
	v_add_u32_e32 v8, 0x200, v24
	v_add_u32_e32 v0, 0x400, v24
	ds_read2_b32 v[6:7], v0 offset0:30 offset1:56
	ds_read2_b32 v[10:11], v0 offset0:82 offset1:108
	ds_read_b32 v0, v25
	ds_read_b32 v22, v24 offset:1560
	ds_read2_b32 v[8:9], v8 offset0:106 offset1:132
	s_waitcnt lgkmcnt(4)
	v_lshrrev_b32_e32 v20, 16, v7
	s_waitcnt lgkmcnt(3)
	v_lshrrev_b32_e32 v21, 16, v10
	v_lshrrev_b32_e32 v28, 16, v11
	s_waitcnt lgkmcnt(1)
	v_lshrrev_b32_e32 v23, 16, v22
	v_lshrrev_b32_e32 v26, 16, v14
	;; [unrolled: 1-line block ×8, first 2 shown]
.LBB0_19:
	s_or_b64 exec, exec, s[2:3]
	v_cmp_gt_u32_e64 s[2:3], 26, v3
	s_and_b64 s[2:3], vcc, s[2:3]
	s_and_saveexec_b64 s[6:7], s[2:3]
	s_cbranch_execz .LBB0_21
; %bb.20:
	v_subrev_u32_e32 v24, 26, v3
	v_cndmask_b32_e64 v24, v24, v3, s[0:1]
	v_mul_i32_i24_e32 v24, 15, v24
	v_mov_b32_e32 v25, 0
	v_lshlrev_b64 v[34:35], 2, v[24:25]
	v_mov_b32_e32 v24, s13
	v_add_co_u32_e32 v49, vcc, s12, v34
	v_addc_co_u32_e32 v50, vcc, v24, v35, vcc
	global_load_dwordx4 v[34:37], v[49:50], off offset:68
	global_load_dwordx4 v[38:41], v[49:50], off offset:52
	;; [unrolled: 1-line block ×3, first 2 shown]
	global_load_dwordx3 v[46:48], v[49:50], off offset:100
	v_mul_lo_u32 v24, s5, v4
	v_mul_lo_u32 v5, s4, v5
	v_mad_u64_u32 v[49:50], s[0:1], s4, v4, 0
	v_lshrrev_b32_e32 v4, 16, v17
	s_waitcnt lgkmcnt(0)
	v_lshrrev_b32_e32 v51, 16, v9
	v_add3_u32 v50, v50, v5, v24
	v_lshrrev_b32_e32 v52, 16, v8
	s_movk_i32 s0, 0x39a8
	s_mov_b32 s1, 0xb9a8
	s_mov_b32 s2, 0xb61f
	;; [unrolled: 1-line block ×3, first 2 shown]
	s_movk_i32 s4, 0x3b64
	s_movk_i32 s5, 0x361f
	s_waitcnt vmcnt(3)
	v_lshrrev_b32_e32 v24, 16, v35
	v_lshrrev_b32_e32 v53, 16, v36
	v_mul_f16_sdwa v57, v17, v37 dst_sel:DWORD dst_unused:UNUSED_PAD src0_sel:DWORD src1_sel:WORD_1
	v_lshrrev_b32_e32 v5, 16, v34
	v_mul_f16_sdwa v54, v4, v37 dst_sel:DWORD dst_unused:UNUSED_PAD src0_sel:DWORD src1_sel:WORD_1
	v_mul_f16_e32 v55, v31, v35
	v_mul_f16_e32 v56, v32, v34
	v_fma_f16 v4, v4, v37, v57
	v_mul_f16_e32 v57, v33, v36
	v_mul_f16_e32 v31, v31, v24
	;; [unrolled: 1-line block ×4, first 2 shown]
	v_fma_f16 v31, v19, v35, -v31
	v_fma_f16 v33, v16, v36, -v33
	v_fma_f16 v19, v19, v24, v55
	s_waitcnt vmcnt(2)
	v_mul_f16_sdwa v24, v30, v39 dst_sel:DWORD dst_unused:UNUSED_PAD src0_sel:DWORD src1_sel:WORD_1
	v_fma_f16 v5, v18, v5, v56
	s_waitcnt vmcnt(0)
	v_lshrrev_b32_e32 v55, 16, v47
	v_fma_f16 v16, v16, v53, v57
	v_mul_f16_sdwa v56, v15, v39 dst_sel:DWORD dst_unused:UNUSED_PAD src0_sel:DWORD src1_sel:WORD_1
	v_mul_f16_sdwa v57, v26, v38 dst_sel:DWORD dst_unused:UNUSED_PAD src0_sel:DWORD src1_sel:WORD_1
	v_fma_f16 v15, v15, v39, -v24
	v_fma_f16 v24, v14, v38, -v57
	v_mul_f16_e32 v57, v28, v47
	v_fma_f16 v30, v30, v39, v56
	v_mul_f16_sdwa v39, v9, v43 dst_sel:DWORD dst_unused:UNUSED_PAD src0_sel:DWORD src1_sel:WORD_1
	v_mul_f16_e32 v28, v28, v55
	v_fma_f16 v17, v17, v37, -v54
	v_fma_f16 v32, v18, v34, -v32
	v_mul_f16_sdwa v18, v51, v43 dst_sel:DWORD dst_unused:UNUSED_PAD src0_sel:DWORD src1_sel:WORD_1
	v_lshrrev_b32_e32 v54, 16, v46
	v_mul_f16_sdwa v14, v14, v38 dst_sel:DWORD dst_unused:UNUSED_PAD src0_sel:DWORD src1_sel:WORD_1
	v_fma_f16 v39, v51, v43, v39
	v_mul_f16_sdwa v51, v52, v42 dst_sel:DWORD dst_unused:UNUSED_PAD src0_sel:DWORD src1_sel:WORD_1
	v_fma_f16 v56, v11, v55, v57
	v_fma_f16 v11, v11, v47, -v28
	v_lshrrev_b32_e32 v47, 16, v6
	v_lshrrev_b32_e32 v34, 16, v41
	;; [unrolled: 1-line block ×4, first 2 shown]
	v_mul_f16_e32 v55, v21, v46
	v_fma_f16 v14, v26, v38, v14
	v_mul_f16_sdwa v26, v12, v40 dst_sel:DWORD dst_unused:UNUSED_PAD src0_sel:DWORD src1_sel:WORD_1
	v_fma_f16 v9, v9, v43, -v18
	v_fma_f16 v18, v8, v42, -v51
	v_mul_f16_e32 v21, v21, v54
	v_mul_f16_sdwa v51, v47, v44 dst_sel:DWORD dst_unused:UNUSED_PAD src0_sel:DWORD src1_sel:WORD_1
	v_mul_f16_e32 v35, v27, v41
	v_mul_f16_e32 v37, v20, v45
	v_fma_f16 v26, v29, v40, v26
	v_mul_f16_sdwa v29, v29, v40 dst_sel:DWORD dst_unused:UNUSED_PAD src0_sel:DWORD src1_sel:WORD_1
	v_fma_f16 v38, v10, v54, v55
	v_mul_f16_e32 v27, v27, v34
	v_fma_f16 v51, v6, v44, -v51
	v_fma_f16 v10, v10, v46, -v21
	v_mul_f16_e32 v21, v23, v48
	v_mul_f16_sdwa v6, v6, v44 dst_sel:DWORD dst_unused:UNUSED_PAD src0_sel:DWORD src1_sel:WORD_1
	v_mul_f16_e32 v23, v23, v53
	v_mul_f16_sdwa v8, v8, v42 dst_sel:DWORD dst_unused:UNUSED_PAD src0_sel:DWORD src1_sel:WORD_1
	v_mul_f16_e32 v20, v20, v36
	v_fma_f16 v35, v13, v34, v35
	v_fma_f16 v37, v7, v36, v37
	v_fma_f16 v12, v12, v40, -v29
	v_fma_f16 v13, v13, v41, -v27
	v_fma_f16 v21, v22, v53, v21
	v_fma_f16 v6, v47, v44, v6
	v_fma_f16 v22, v22, v48, -v23
	v_fma_f16 v8, v52, v42, v8
	v_lshrrev_b32_e32 v36, 16, v0
	v_fma_f16 v7, v7, v45, -v20
	v_sub_f16_e32 v17, v0, v17
	v_sub_f16_e32 v29, v35, v37
	;; [unrolled: 1-line block ×19, first 2 shown]
	v_add_f16_e32 v41, v37, v11
	v_sub_f16_e32 v44, v51, v21
	v_add_f16_e32 v23, v6, v22
	v_add_f16_e32 v42, v8, v10
	;; [unrolled: 1-line block ×3, first 2 shown]
	v_fma_f16 v40, v38, s0, v27
	v_fma_f16 v46, v44, s0, v39
	;; [unrolled: 1-line block ×8, first 2 shown]
	v_fma_f16 v43, v27, 2.0, -v40
	v_fma_f16 v47, v39, 2.0, -v46
	;; [unrolled: 1-line block ×26, first 2 shown]
	v_sub_f16_e32 v7, v0, v7
	v_sub_f16_e32 v17, v13, v17
	;; [unrolled: 1-line block ×10, first 2 shown]
	v_add_f16_e32 v22, v5, v14
	v_add_f16_e32 v15, v26, v11
	v_fma_f16 v24, v21, s0, v19
	v_fma_f16 v28, v22, s0, v15
	;; [unrolled: 1-line block ×4, first 2 shown]
	v_fma_f16 v31, v7, 2.0, -v19
	v_fma_f16 v21, v10, 2.0, -v21
	;; [unrolled: 1-line block ×11, first 2 shown]
	v_sub_f16_e32 v7, v0, v7
	v_sub_f16_e32 v6, v5, v6
	;; [unrolled: 1-line block ×5, first 2 shown]
	v_add_f16_e32 v12, v9, v11
	v_fma_f16 v4, v4, 2.0, -v9
	v_fma_f16 v5, v5, 2.0, -v6
	;; [unrolled: 1-line block ×6, first 2 shown]
	v_sub_f16_e32 v9, v4, v5
	v_lshlrev_b64 v[5:6], 2, v[49:50]
	v_fma_f16 v48, v47, s2, v43
	v_sub_f16_e32 v7, v0, v7
	v_fma_f16 v48, v53, s3, v48
	v_fma_f16 v53, v53, s2, v54
	v_fma_f16 v44, v51, 2.0, -v44
	v_fma_f16 v33, v26, 2.0, -v15
	;; [unrolled: 1-line block ×4, first 2 shown]
	v_mov_b32_e32 v0, s11
	v_add_co_u32_e32 v5, vcc, s10, v5
	v_fma_f16 v47, v47, s4, v53
	v_fma_f16 v53, v38, s1, v27
	v_fma_f16 v41, v37, 2.0, -v41
	v_fma_f16 v55, v44, s1, v39
	v_addc_co_u32_e32 v6, vcc, v0, v6, vcc
	v_lshlrev_b64 v[0:1], 2, v[1:2]
	v_fma_f16 v53, v41, s1, v53
	v_fma_f16 v55, v23, s1, v55
	;; [unrolled: 1-line block ×7, first 2 shown]
	v_fma_f16 v18, v27, 2.0, -v53
	v_fma_f16 v26, v39, 2.0, -v55
	;; [unrolled: 1-line block ×4, first 2 shown]
	v_mov_b32_e32 v4, v25
	v_add_co_u32_e32 v2, vcc, v5, v0
	v_fma_f16 v44, v23, s3, v56
	v_fma_f16 v41, v23, s5, v38
	;; [unrolled: 1-line block ×3, first 2 shown]
	v_fma_f16 v23, v42, 2.0, -v23
	v_fma_f16 v20, v20, 2.0, -v38
	v_addc_co_u32_e32 v5, vcc, v6, v1, vcc
	v_lshlrev_b64 v[0:1], 2, v[3:4]
	v_fma_f16 v32, v21, s1, v31
	v_fma_f16 v27, v23, s2, v27
	;; [unrolled: 1-line block ×6, first 2 shown]
	v_add_co_u32_e32 v0, vcc, v2, v0
	v_fma_f16 v21, v21, s0, v22
	v_fma_f16 v18, v18, 2.0, -v27
	v_fma_f16 v20, v20, 2.0, -v23
	v_addc_co_u32_e32 v1, vcc, v5, v1, vcc
	v_pack_b32_f16 v2, v15, v19
	v_fma_f16 v13, v31, 2.0, -v32
	v_fma_f16 v14, v33, 2.0, -v21
	global_store_dword v[0:1], v2, off
	v_pack_b32_f16 v2, v18, v20
	v_fma_f16 v22, v43, 2.0, -v48
	v_fma_f16 v34, v54, 2.0, -v47
	global_store_dword v[0:1], v2, off offset:104
	v_pack_b32_f16 v2, v13, v14
	v_fma_f16 v41, v55, s4, v41
	v_fma_f16 v56, v46, s4, v40
	global_store_dword v[0:1], v2, off offset:208
	v_pack_b32_f16 v2, v22, v34
	v_fma_f16 v56, v52, s2, v56
	v_fma_f16 v52, v52, s4, v45
	v_fma_f16 v29, v53, 2.0, -v44
	v_fma_f16 v30, v38, 2.0, -v41
	global_store_dword v[0:1], v2, off offset:312
	v_pack_b32_f16 v2, v16, v17
	v_fma_f16 v46, v46, s5, v52
	global_store_dword v[0:1], v2, off offset:416
	v_pack_b32_f16 v2, v29, v30
	v_fma_f16 v40, v40, 2.0, -v56
	v_fma_f16 v45, v45, 2.0, -v46
	global_store_dword v[0:1], v2, off offset:520
	v_pack_b32_f16 v2, v10, v11
	global_store_dword v[0:1], v2, off offset:624
	v_pack_b32_f16 v2, v40, v45
	global_store_dword v[0:1], v2, off offset:728
	v_pack_b32_f16 v2, v7, v9
	global_store_dword v[0:1], v2, off offset:832
	v_pack_b32_f16 v2, v27, v23
	global_store_dword v[0:1], v2, off offset:936
	v_pack_b32_f16 v2, v32, v21
	global_store_dword v[0:1], v2, off offset:1040
	v_pack_b32_f16 v2, v48, v47
	global_store_dword v[0:1], v2, off offset:1144
	v_pack_b32_f16 v2, v8, v12
	global_store_dword v[0:1], v2, off offset:1248
	v_pack_b32_f16 v2, v44, v41
	global_store_dword v[0:1], v2, off offset:1352
	v_pack_b32_f16 v2, v24, v28
	global_store_dword v[0:1], v2, off offset:1456
	v_pack_b32_f16 v2, v56, v46
	global_store_dword v[0:1], v2, off offset:1560
.LBB0_21:
	s_endpgm
	.section	.rodata,"a",@progbits
	.p2align	6, 0x0
	.amdhsa_kernel fft_rtc_fwd_len416_factors_13_2_16_wgs_64_tpt_32_half_op_CI_CI_unitstride_sbrr_dirReg
		.amdhsa_group_segment_fixed_size 0
		.amdhsa_private_segment_fixed_size 0
		.amdhsa_kernarg_size 104
		.amdhsa_user_sgpr_count 6
		.amdhsa_user_sgpr_private_segment_buffer 1
		.amdhsa_user_sgpr_dispatch_ptr 0
		.amdhsa_user_sgpr_queue_ptr 0
		.amdhsa_user_sgpr_kernarg_segment_ptr 1
		.amdhsa_user_sgpr_dispatch_id 0
		.amdhsa_user_sgpr_flat_scratch_init 0
		.amdhsa_user_sgpr_private_segment_size 0
		.amdhsa_uses_dynamic_stack 0
		.amdhsa_system_sgpr_private_segment_wavefront_offset 0
		.amdhsa_system_sgpr_workgroup_id_x 1
		.amdhsa_system_sgpr_workgroup_id_y 0
		.amdhsa_system_sgpr_workgroup_id_z 0
		.amdhsa_system_sgpr_workgroup_info 0
		.amdhsa_system_vgpr_workitem_id 0
		.amdhsa_next_free_vgpr 60
		.amdhsa_next_free_sgpr 28
		.amdhsa_reserve_vcc 1
		.amdhsa_reserve_flat_scratch 0
		.amdhsa_float_round_mode_32 0
		.amdhsa_float_round_mode_16_64 0
		.amdhsa_float_denorm_mode_32 3
		.amdhsa_float_denorm_mode_16_64 3
		.amdhsa_dx10_clamp 1
		.amdhsa_ieee_mode 1
		.amdhsa_fp16_overflow 0
		.amdhsa_exception_fp_ieee_invalid_op 0
		.amdhsa_exception_fp_denorm_src 0
		.amdhsa_exception_fp_ieee_div_zero 0
		.amdhsa_exception_fp_ieee_overflow 0
		.amdhsa_exception_fp_ieee_underflow 0
		.amdhsa_exception_fp_ieee_inexact 0
		.amdhsa_exception_int_div_zero 0
	.end_amdhsa_kernel
	.text
.Lfunc_end0:
	.size	fft_rtc_fwd_len416_factors_13_2_16_wgs_64_tpt_32_half_op_CI_CI_unitstride_sbrr_dirReg, .Lfunc_end0-fft_rtc_fwd_len416_factors_13_2_16_wgs_64_tpt_32_half_op_CI_CI_unitstride_sbrr_dirReg
                                        ; -- End function
	.section	.AMDGPU.csdata,"",@progbits
; Kernel info:
; codeLenInByte = 7660
; NumSgprs: 32
; NumVgprs: 60
; ScratchSize: 0
; MemoryBound: 0
; FloatMode: 240
; IeeeMode: 1
; LDSByteSize: 0 bytes/workgroup (compile time only)
; SGPRBlocks: 3
; VGPRBlocks: 14
; NumSGPRsForWavesPerEU: 32
; NumVGPRsForWavesPerEU: 60
; Occupancy: 4
; WaveLimiterHint : 1
; COMPUTE_PGM_RSRC2:SCRATCH_EN: 0
; COMPUTE_PGM_RSRC2:USER_SGPR: 6
; COMPUTE_PGM_RSRC2:TRAP_HANDLER: 0
; COMPUTE_PGM_RSRC2:TGID_X_EN: 1
; COMPUTE_PGM_RSRC2:TGID_Y_EN: 0
; COMPUTE_PGM_RSRC2:TGID_Z_EN: 0
; COMPUTE_PGM_RSRC2:TIDIG_COMP_CNT: 0
	.type	__hip_cuid_f993fd57b30a83d,@object ; @__hip_cuid_f993fd57b30a83d
	.section	.bss,"aw",@nobits
	.globl	__hip_cuid_f993fd57b30a83d
__hip_cuid_f993fd57b30a83d:
	.byte	0                               ; 0x0
	.size	__hip_cuid_f993fd57b30a83d, 1

	.ident	"AMD clang version 19.0.0git (https://github.com/RadeonOpenCompute/llvm-project roc-6.4.0 25133 c7fe45cf4b819c5991fe208aaa96edf142730f1d)"
	.section	".note.GNU-stack","",@progbits
	.addrsig
	.addrsig_sym __hip_cuid_f993fd57b30a83d
	.amdgpu_metadata
---
amdhsa.kernels:
  - .args:
      - .actual_access:  read_only
        .address_space:  global
        .offset:         0
        .size:           8
        .value_kind:     global_buffer
      - .offset:         8
        .size:           8
        .value_kind:     by_value
      - .actual_access:  read_only
        .address_space:  global
        .offset:         16
        .size:           8
        .value_kind:     global_buffer
      - .actual_access:  read_only
        .address_space:  global
        .offset:         24
        .size:           8
        .value_kind:     global_buffer
      - .actual_access:  read_only
        .address_space:  global
        .offset:         32
        .size:           8
        .value_kind:     global_buffer
      - .offset:         40
        .size:           8
        .value_kind:     by_value
      - .actual_access:  read_only
        .address_space:  global
        .offset:         48
        .size:           8
        .value_kind:     global_buffer
      - .actual_access:  read_only
        .address_space:  global
        .offset:         56
        .size:           8
        .value_kind:     global_buffer
      - .offset:         64
        .size:           4
        .value_kind:     by_value
      - .actual_access:  read_only
        .address_space:  global
        .offset:         72
        .size:           8
        .value_kind:     global_buffer
      - .actual_access:  read_only
        .address_space:  global
        .offset:         80
        .size:           8
        .value_kind:     global_buffer
      - .actual_access:  read_only
        .address_space:  global
        .offset:         88
        .size:           8
        .value_kind:     global_buffer
      - .actual_access:  write_only
        .address_space:  global
        .offset:         96
        .size:           8
        .value_kind:     global_buffer
    .group_segment_fixed_size: 0
    .kernarg_segment_align: 8
    .kernarg_segment_size: 104
    .language:       OpenCL C
    .language_version:
      - 2
      - 0
    .max_flat_workgroup_size: 64
    .name:           fft_rtc_fwd_len416_factors_13_2_16_wgs_64_tpt_32_half_op_CI_CI_unitstride_sbrr_dirReg
    .private_segment_fixed_size: 0
    .sgpr_count:     32
    .sgpr_spill_count: 0
    .symbol:         fft_rtc_fwd_len416_factors_13_2_16_wgs_64_tpt_32_half_op_CI_CI_unitstride_sbrr_dirReg.kd
    .uniform_work_group_size: 1
    .uses_dynamic_stack: false
    .vgpr_count:     60
    .vgpr_spill_count: 0
    .wavefront_size: 64
amdhsa.target:   amdgcn-amd-amdhsa--gfx906
amdhsa.version:
  - 1
  - 2
...

	.end_amdgpu_metadata
